;; amdgpu-corpus repo=ROCm/AMDMIGraphX kind=compiled arch=gfx950 opt=O3
	.text
	.amdgcn_target "amdgcn-amd-amdhsa--gfx950"
	.amdhsa_code_object_version 6
	.protected	math_ops_f32            ; -- Begin function math_ops_f32
	.globl	math_ops_f32
	.p2align	8
	.type	math_ops_f32,@function
math_ops_f32:                           ; @math_ops_f32
; %bb.0:
	s_load_dword s3, s[0:1], 0x1c
	s_waitcnt lgkmcnt(0)
	s_and_b32 s3, s3, 0xffff
	s_mul_i32 s2, s2, s3
	v_add_u32_e32 v0, s2, v0
	s_mov_b32 s2, 0x10000
	v_cmp_gt_u32_e32 vcc, s2, v0
	s_and_saveexec_b64 s[2:3], vcc
	s_cbranch_execz .LBB0_15
; %bb.1:
	s_load_dwordx4 s[0:3], s[0:1], 0x0
	v_mov_b32_e32 v1, 0
	v_lshlrev_b64 v[4:5], 2, v[0:1]
	v_add_u32_e32 v12, 0xffffc000, v0
	s_mov_b64 s[6:7], 0
	s_waitcnt lgkmcnt(0)
	v_lshl_add_u64 v[2:3], s[0:1], 0, v[4:5]
	v_lshl_add_u64 v[4:5], s[2:3], 0, v[4:5]
	s_brev_b32 s14, -2
	s_brev_b32 s15, 18
	s_mov_b32 s16, 0x800000
	s_mov_b32 s17, 0xfe5163ab
	;; [unrolled: 1-line block ×16, first 2 shown]
	v_mov_b32_e32 v7, 1.0
	v_mov_b32_e32 v13, 0x3ca908c9
	s_mov_b32 s33, 0xf800000
	s_mov_b32 s34, 0x4f800000
	v_mov_b32_e32 v14, 0x260
	s_movk_i32 s35, 0x1f8
	s_brev_b32 s36, 1
	v_mov_b32_e32 v15, 0x3c0881c4
	v_mov_b32_e32 v16, 0xbab64f3b
	s_mov_b32 s37, 0x3f317217
	s_mov_b64 s[8:9], 0x10000
	s_mov_b32 s38, 0xbfff
	v_not_b32_e32 v17, 63
	v_not_b32_e32 v18, 31
	v_mov_b32_e32 v19, 0x7f800000
	v_mov_b32_e32 v20, 0x7fc00000
	;; [unrolled: 1-line block ×4, first 2 shown]
                                        ; implicit-def: $vgpr0
                                        ; implicit-def: $vgpr0
	;; [unrolled: 1-line block ×6, first 2 shown]
	s_branch .LBB0_3
.LBB0_2:                                ;   in Loop: Header=BB0_3 Depth=1
	s_or_b64 exec, exec, s[0:1]
	v_mul_f32_e64 v10, |v23|, s34
	v_cmp_lt_f32_e64 vcc, |v23|, s33
	v_xor_b32_e32 v6, v6, v23
	v_and_b32_e32 v29, 1, v9
	v_cndmask_b32_e64 v10, |v23|, v10, vcc
	v_sqrt_f32_e32 v25, v10
	v_and_b32_e32 v30, 1, v0
	v_lshlrev_b32_e32 v0, 30, v0
	v_add_u32_e32 v12, 0x4000, v12
	v_add_u32_e32 v26, -1, v25
	v_fma_f32 v28, -v26, v25, v10
	v_add_u32_e32 v27, 1, v25
	v_cmp_ge_f32_e64 s[0:1], 0, v28
	v_lshl_add_u64 v[2:3], v[2:3], 0, s[8:9]
	s_nop 0
	v_cndmask_b32_e64 v26, v25, v26, s[0:1]
	v_fma_f32 v25, -v27, v25, v10
	v_cmp_lt_f32_e64 s[0:1], 0, v25
	s_nop 1
	v_cndmask_b32_e64 v25, v26, v27, s[0:1]
	v_mul_f32_e32 v26, 0x37800000, v25
	v_cndmask_b32_e32 v25, v25, v26, vcc
	v_cmp_class_f32_e32 vcc, v10, v14
	v_mov_b32_e32 v27, v11
	s_nop 0
	v_cndmask_b32_e32 v25, v25, v10, vcc
	v_lshlrev_b32_e32 v10, 30, v9
	v_and_b32_e32 v10, 0x80000000, v10
	v_xor_b32_e32 v28, v6, v10
	v_mul_f32_e32 v10, v8, v8
	v_fmamk_f32 v6, v10, 0xb94c1982, v15
	v_fmaak_f32 v26, v10, v6, 0xbe2aaa9d
	v_fmamk_f32 v6, v10, 0x37d75334, v16
	v_fmaak_f32 v6, v10, v6, 0x3d2aabf7
	v_fmaak_f32 v6, v10, v6, 0xbf000004
	v_pk_mul_f32 v[26:27], v[10:11], v[26:27]
	v_fma_f32 v31, v10, v6, 1.0
	v_fmamk_f32 v6, v27, 0x37d75334, v16
	v_fmaak_f32 v6, v27, v6, 0x3d2aabf7
	v_fmaak_f32 v9, v27, v6, 0xbf000004
	v_mov_b32_e32 v6, v8
	v_pk_fma_f32 v[8:9], v[8:9], v[26:27], v[6:7]
	v_fmamk_f32 v6, v27, 0xb94c1982, v15
	v_fmaak_f32 v6, v27, v6, 0xbe2aaa9d
	v_mul_f32_e32 v6, v27, v6
	v_cmp_eq_u32_e32 vcc, 0, v29
	v_fmac_f32_e32 v11, v11, v6
	s_nop 0
	v_cndmask_b32_e32 v6, v31, v8, vcc
	v_cmp_eq_u32_e32 vcc, 0, v30
	v_xor_b32_e32 v6, v28, v6
	s_nop 0
	v_cndmask_b32_e64 v8, -v11, v9, vcc
	v_bitop3_b32 v0, v0, v8, s36 bitop3:0x6c
	v_mul_f32_e32 v0, v0, v6
	v_cmp_class_f32_e64 vcc, v23, s35
	v_add_f32_e64 v6, |v23|, 1.0
	s_nop 0
	v_cndmask_b32_e32 v0, v20, v0, vcc
	v_cmp_gt_f32_e32 vcc, s16, v6
	v_add_f32_e32 v0, v25, v0
	s_nop 0
	v_cndmask_b32_e32 v8, 1.0, v21, vcc
	v_mul_f32_e32 v6, v6, v8
	v_log_f32_e32 v6, v6
	v_bfi_b32 v8, s14, v24, v23
	v_add_f32_e32 v0, v0, v8
	v_mul_f32_e32 v8, 0x3f317217, v6
	v_fma_f32 v9, v6, s37, -v8
	v_fmac_f32_e32 v9, 0x3377d1cf, v6
	v_add_f32_e32 v8, v8, v9
	v_cmp_lt_f32_e64 s[0:1], |v6|, s31
	s_nop 1
	v_cndmask_b32_e64 v6, v6, v8, s[0:1]
	v_cndmask_b32_e32 v8, 0, v22, vcc
	v_sub_f32_e32 v6, v6, v8
	v_add_f32_e32 v0, v6, v0
	v_cmp_lt_u32_e32 vcc, s38, v12
	global_store_dword v[4:5], v0, off
	s_or_b64 s[6:7], vcc, s[6:7]
	v_lshl_add_u64 v[4:5], v[4:5], 0, s[8:9]
	s_andn2_b64 exec, exec, s[6:7]
	s_cbranch_execz .LBB0_15
.LBB0_3:                                ; =>This Inner Loop Header: Depth=1
	global_load_dword v23, v[2:3], off
                                        ; implicit-def: $vgpr9
	s_waitcnt vmcnt(0)
	v_and_b32_e32 v6, 0x7fffffff, v23
	v_lshrrev_b32_e32 v0, 23, v6
	v_and_b32_e32 v8, 0x7fffff, v6
	v_cmp_nlt_f32_e64 s[10:11], |v23|, s15
	v_add_u32_e32 v24, 0xffffff88, v0
	v_or_b32_e32 v10, 0x800000, v8
                                        ; implicit-def: $vgpr8
	s_and_saveexec_b64 s[0:1], s[10:11]
	s_xor_b64 s[12:13], exec, s[0:1]
	s_cbranch_execz .LBB0_5
; %bb.4:                                ;   in Loop: Header=BB0_3 Depth=1
	v_cmp_lt_u32_e32 vcc, 63, v24
	s_nop 1
	v_cndmask_b32_e32 v0, 0, v17, vcc
	v_add_u32_e32 v0, v0, v24
	v_cmp_lt_u32_e64 s[0:1], 31, v0
	s_nop 1
	v_cndmask_b32_e64 v8, 0, v18, s[0:1]
	v_add_u32_e32 v0, v8, v0
	v_cmp_lt_u32_e64 s[2:3], 31, v0
	s_nop 1
	v_cndmask_b32_e64 v8, 0, v18, s[2:3]
	v_add_u32_e32 v11, v8, v0
	v_mad_u64_u32 v[8:9], s[4:5], v10, s17, 0
	v_mov_b32_e32 v0, v9
	v_mad_u64_u32 v[26:27], s[4:5], v10, s18, v[0:1]
	v_mov_b32_e32 v0, v27
	v_mad_u64_u32 v[28:29], s[4:5], v10, s19, v[0:1]
	v_mov_b32_e32 v0, v29
	v_mad_u64_u32 v[30:31], s[4:5], v10, s20, v[0:1]
	v_mov_b32_e32 v0, v31
	v_mad_u64_u32 v[32:33], s[4:5], v10, s21, v[0:1]
	v_mov_b32_e32 v0, v33
	v_mad_u64_u32 v[34:35], s[4:5], v10, s22, v[0:1]
	v_mov_b32_e32 v0, v35
	v_mad_u64_u32 v[36:37], s[4:5], v10, s23, v[0:1]
	v_cndmask_b32_e32 v9, v34, v30, vcc
	v_cndmask_b32_e32 v0, v36, v32, vcc
	;; [unrolled: 1-line block ×3, first 2 shown]
	v_cndmask_b32_e64 v25, v0, v9, s[0:1]
	v_cndmask_b32_e64 v0, v27, v0, s[0:1]
	v_cndmask_b32_e32 v27, v32, v28, vcc
	v_cndmask_b32_e64 v9, v9, v27, s[0:1]
	v_sub_u32_e32 v29, 32, v11
	v_cmp_eq_u32_e64 s[4:5], 0, v11
	v_cndmask_b32_e32 v11, v30, v26, vcc
	v_cndmask_b32_e64 v0, v0, v25, s[2:3]
	v_cndmask_b32_e64 v25, v25, v9, s[2:3]
	;; [unrolled: 1-line block ×3, first 2 shown]
	v_alignbit_b32 v31, v0, v25, v29
	v_cndmask_b32_e64 v9, v9, v26, s[2:3]
	v_cndmask_b32_e32 v8, v28, v8, vcc
	v_cndmask_b32_e64 v0, v31, v0, s[4:5]
	v_alignbit_b32 v27, v25, v9, v29
	v_cndmask_b32_e64 v8, v11, v8, s[0:1]
	v_cndmask_b32_e64 v25, v27, v25, s[4:5]
	v_bfe_u32 v31, v0, 29, 1
	v_cndmask_b32_e64 v8, v26, v8, s[2:3]
	v_alignbit_b32 v27, v0, v25, 30
	v_sub_u32_e32 v32, 0, v31
	v_alignbit_b32 v11, v9, v8, v29
	v_xor_b32_e32 v33, v27, v32
	v_cndmask_b32_e64 v9, v11, v9, s[4:5]
	v_alignbit_b32 v11, v25, v9, 30
	v_ffbh_u32_e32 v25, v33
	v_add_u32_e32 v25, 1, v25
	v_cmp_ne_u32_e32 vcc, v27, v32
	v_alignbit_b32 v8, v9, v8, 30
	v_xor_b32_e32 v11, v11, v32
	v_cndmask_b32_e32 v25, 33, v25, vcc
	v_sub_u32_e32 v26, 32, v25
	v_xor_b32_e32 v8, v8, v32
	v_alignbit_b32 v27, v33, v11, v26
	v_alignbit_b32 v8, v11, v8, v26
	;; [unrolled: 1-line block ×3, first 2 shown]
	v_ffbh_u32_e32 v11, v9
	v_min_u32_e32 v11, 32, v11
	v_lshrrev_b32_e32 v30, 29, v0
	v_sub_u32_e32 v26, 31, v11
	v_alignbit_b32 v8, v9, v8, v26
	v_lshlrev_b32_e32 v9, 31, v30
	v_or_b32_e32 v26, 0x33800000, v9
	v_add_lshl_u32 v11, v11, v25, 23
	v_lshrrev_b32_e32 v8, 9, v8
	v_sub_u32_e32 v11, v26, v11
	v_or_b32_e32 v8, v11, v8
	v_alignbit_b32 v11, v25, v27, 9
	v_bitop3_b32 v9, v11, 1.0, v9 bitop3:0x36
	v_mul_f32_e32 v11, 0x3fc90fda, v9
	v_fma_f32 v25, v9, s24, -v11
	v_fmac_f32_e32 v25, 0x33a22168, v9
	v_fmac_f32_e32 v25, 0x3fc90fda, v8
	v_lshrrev_b32_e32 v0, 30, v0
	v_add_f32_e32 v8, v11, v25
	v_add_u32_e32 v9, v31, v0
.LBB0_5:                                ;   in Loop: Header=BB0_3 Depth=1
	s_or_saveexec_b64 s[0:1], s[12:13]
	v_mul_f32_e64 v0, |v23|, s25
	v_rndne_f32_e32 v25, v0
	s_xor_b64 exec, exec, s[0:1]
; %bb.6:                                ;   in Loop: Header=BB0_3 Depth=1
	v_cvt_i32_f32_e32 v9, v25
	v_fma_f32 v8, v25, s26, |v23|
	v_fmac_f32_e32 v8, 0xb3a22168, v25
	v_fmac_f32_e32 v8, 0xa7c234c4, v25
; %bb.7:                                ;   in Loop: Header=BB0_3 Depth=1
	s_or_b64 exec, exec, s[0:1]
                                        ; implicit-def: $vgpr0
                                        ; implicit-def: $vgpr11
	s_and_saveexec_b64 s[0:1], s[10:11]
	s_xor_b64 s[10:11], exec, s[0:1]
	s_cbranch_execz .LBB0_9
; %bb.8:                                ;   in Loop: Header=BB0_3 Depth=1
	v_cmp_lt_u32_e32 vcc, 63, v24
	s_nop 1
	v_cndmask_b32_e32 v0, 0, v17, vcc
	v_add_u32_e32 v0, v0, v24
	v_cmp_lt_u32_e64 s[0:1], 31, v0
	v_mad_u64_u32 v[24:25], s[4:5], v10, s17, 0
	s_nop 0
	v_cndmask_b32_e64 v11, 0, v18, s[0:1]
	v_add_u32_e32 v0, v11, v0
	v_cmp_lt_u32_e64 s[2:3], 31, v0
	s_nop 1
	v_cndmask_b32_e64 v11, 0, v18, s[2:3]
	v_add_u32_e32 v36, v11, v0
	v_mov_b32_e32 v0, v25
	v_mad_u64_u32 v[26:27], s[4:5], v10, s18, v[0:1]
	v_mov_b32_e32 v0, v27
	v_mad_u64_u32 v[28:29], s[4:5], v10, s19, v[0:1]
	;; [unrolled: 2-line block ×6, first 2 shown]
	v_cndmask_b32_e32 v25, v34, v30, vcc
	v_cndmask_b32_e32 v0, v10, v32, vcc
	;; [unrolled: 1-line block ×3, first 2 shown]
	v_cndmask_b32_e64 v10, v0, v25, s[0:1]
	v_cndmask_b32_e64 v0, v11, v0, s[0:1]
	v_cndmask_b32_e32 v11, v32, v28, vcc
	v_cndmask_b32_e64 v25, v25, v11, s[0:1]
	v_cndmask_b32_e32 v26, v30, v26, vcc
	v_cndmask_b32_e64 v0, v0, v10, s[2:3]
	v_cndmask_b32_e64 v10, v10, v25, s[2:3]
	v_sub_u32_e32 v27, 32, v36
	v_cndmask_b32_e64 v11, v11, v26, s[0:1]
	v_alignbit_b32 v29, v0, v10, v27
	v_cmp_eq_u32_e64 s[4:5], 0, v36
	v_cndmask_b32_e64 v25, v25, v11, s[2:3]
	v_cndmask_b32_e32 v24, v28, v24, vcc
	v_cndmask_b32_e64 v0, v29, v0, s[4:5]
	v_alignbit_b32 v29, v10, v25, v27
	v_cndmask_b32_e64 v10, v29, v10, s[4:5]
	v_bfe_u32 v31, v0, 29, 1
	v_cndmask_b32_e64 v24, v26, v24, s[0:1]
	v_alignbit_b32 v29, v0, v10, 30
	v_sub_u32_e32 v32, 0, v31
	v_cndmask_b32_e64 v11, v11, v24, s[2:3]
	v_xor_b32_e32 v33, v29, v32
	v_alignbit_b32 v24, v25, v11, v27
	v_cndmask_b32_e64 v24, v24, v25, s[4:5]
	v_ffbh_u32_e32 v25, v33
	v_add_u32_e32 v25, 1, v25
	v_cmp_ne_u32_e32 vcc, v29, v32
	v_alignbit_b32 v10, v10, v24, 30
	v_alignbit_b32 v11, v24, v11, 30
	v_cndmask_b32_e32 v25, 33, v25, vcc
	v_xor_b32_e32 v10, v10, v32
	v_sub_u32_e32 v26, 32, v25
	v_xor_b32_e32 v11, v11, v32
	v_alignbit_b32 v27, v33, v10, v26
	v_alignbit_b32 v10, v10, v11, v26
	;; [unrolled: 1-line block ×3, first 2 shown]
	v_ffbh_u32_e32 v24, v11
	v_min_u32_e32 v24, 32, v24
	v_lshrrev_b32_e32 v30, 29, v0
	v_sub_u32_e32 v26, 31, v24
	v_alignbit_b32 v10, v11, v10, v26
	v_lshlrev_b32_e32 v11, 31, v30
	v_or_b32_e32 v26, 0x33800000, v11
	v_add_lshl_u32 v24, v24, v25, 23
	v_lshrrev_b32_e32 v10, 9, v10
	v_sub_u32_e32 v24, v26, v24
	v_or_b32_e32 v10, v24, v10
	v_alignbit_b32 v24, v25, v27, 9
	v_bitop3_b32 v11, v24, 1.0, v11 bitop3:0x36
	v_mul_f32_e32 v24, 0x3fc90fda, v11
	v_fma_f32 v25, v11, s24, -v24
	v_fmac_f32_e32 v25, 0x33a22168, v11
	v_fmac_f32_e32 v25, 0x3fc90fda, v10
	v_lshrrev_b32_e32 v0, 30, v0
	v_add_f32_e32 v11, v24, v25
	v_add_u32_e32 v0, v31, v0
                                        ; implicit-def: $vgpr25
	s_andn2_saveexec_b64 s[0:1], s[10:11]
	s_cbranch_execnz .LBB0_10
	s_branch .LBB0_11
.LBB0_9:                                ;   in Loop: Header=BB0_3 Depth=1
	s_andn2_saveexec_b64 s[0:1], s[10:11]
.LBB0_10:                               ;   in Loop: Header=BB0_3 Depth=1
	v_cvt_i32_f32_e32 v0, v25
	v_fma_f32 v11, v25, s26, |v23|
	v_fmac_f32_e32 v11, 0xb3a22168, v25
	v_fmac_f32_e32 v11, 0xa7c234c4, v25
.LBB0_11:                               ;   in Loop: Header=BB0_3 Depth=1
	s_or_b64 exec, exec, s[0:1]
	v_cmp_nlt_f32_e64 s[0:1], |v23|, s27
                                        ; implicit-def: $vgpr24
	s_and_saveexec_b64 s[2:3], s[0:1]
	s_xor_b64 s[0:1], exec, s[2:3]
	s_cbranch_execz .LBB0_13
; %bb.12:                               ;   in Loop: Header=BB0_3 Depth=1
	v_add_f32_e64 v10, |v23|, |v23|
	v_mul_f32_e32 v24, 0x3fb8aa3b, v10
	v_rndne_f32_e32 v25, v24
	v_sub_f32_e32 v26, v24, v25
	v_fma_f32 v24, v10, s28, -v24
	v_fmac_f32_e32 v24, 0x32a5705f, v10
	v_add_f32_e32 v24, v26, v24
	v_cvt_i32_f32_e32 v25, v25
	v_exp_f32_e32 v24, v24
	v_cmp_ngt_f32_e32 vcc, s29, v10
	v_ldexp_f32 v24, v24, v25
	s_nop 0
	v_cndmask_b32_e32 v24, 0, v24, vcc
	v_cmp_nlt_f32_e32 vcc, s30, v10
	s_nop 1
	v_cndmask_b32_e32 v10, v19, v24, vcc
	v_add_f32_e32 v10, 1.0, v10
	v_rcp_f32_e32 v10, v10
	s_nop 0
	v_fma_f32 v24, v10, -2.0, 1.0
.LBB0_13:                               ;   in Loop: Header=BB0_3 Depth=1
	s_andn2_saveexec_b64 s[0:1], s[0:1]
	s_cbranch_execz .LBB0_2
; %bb.14:                               ;   in Loop: Header=BB0_3 Depth=1
	v_mul_f32_e32 v10, v23, v23
	v_fmamk_f32 v24, v10, 0xbbbac73d, v13
	v_fmaak_f32 v24, v10, v24, 0xbd5c1c4e
	v_fmaak_f32 v24, v10, v24, 0x3e088382
	;; [unrolled: 1-line block ×3, first 2 shown]
	v_mul_f32_e64 v24, |v23|, v24
	v_fma_f32 v24, v10, v24, |v23|
	s_branch .LBB0_2
.LBB0_15:
	s_endpgm
	.section	.rodata,"a",@progbits
	.p2align	6, 0x0
	.amdhsa_kernel math_ops_f32
		.amdhsa_group_segment_fixed_size 0
		.amdhsa_private_segment_fixed_size 0
		.amdhsa_kernarg_size 272
		.amdhsa_user_sgpr_count 2
		.amdhsa_user_sgpr_dispatch_ptr 0
		.amdhsa_user_sgpr_queue_ptr 0
		.amdhsa_user_sgpr_kernarg_segment_ptr 1
		.amdhsa_user_sgpr_dispatch_id 0
		.amdhsa_user_sgpr_kernarg_preload_length 0
		.amdhsa_user_sgpr_kernarg_preload_offset 0
		.amdhsa_user_sgpr_private_segment_size 0
		.amdhsa_uses_dynamic_stack 0
		.amdhsa_enable_private_segment 0
		.amdhsa_system_sgpr_workgroup_id_x 1
		.amdhsa_system_sgpr_workgroup_id_y 0
		.amdhsa_system_sgpr_workgroup_id_z 0
		.amdhsa_system_sgpr_workgroup_info 0
		.amdhsa_system_vgpr_workitem_id 0
		.amdhsa_next_free_vgpr 38
		.amdhsa_next_free_sgpr 39
		.amdhsa_accum_offset 40
		.amdhsa_reserve_vcc 1
		.amdhsa_float_round_mode_32 0
		.amdhsa_float_round_mode_16_64 0
		.amdhsa_float_denorm_mode_32 3
		.amdhsa_float_denorm_mode_16_64 3
		.amdhsa_dx10_clamp 1
		.amdhsa_ieee_mode 1
		.amdhsa_fp16_overflow 0
		.amdhsa_tg_split 0
		.amdhsa_exception_fp_ieee_invalid_op 0
		.amdhsa_exception_fp_denorm_src 0
		.amdhsa_exception_fp_ieee_div_zero 0
		.amdhsa_exception_fp_ieee_overflow 0
		.amdhsa_exception_fp_ieee_underflow 0
		.amdhsa_exception_fp_ieee_inexact 0
		.amdhsa_exception_int_div_zero 0
	.end_amdhsa_kernel
	.text
.Lfunc_end0:
	.size	math_ops_f32, .Lfunc_end0-math_ops_f32
                                        ; -- End function
	.section	.AMDGPU.csdata,"",@progbits
; Kernel info:
; codeLenInByte = 2240
; NumSgprs: 45
; NumVgprs: 38
; NumAgprs: 0
; TotalNumVgprs: 38
; ScratchSize: 0
; MemoryBound: 0
; FloatMode: 240
; IeeeMode: 1
; LDSByteSize: 0 bytes/workgroup (compile time only)
; SGPRBlocks: 5
; VGPRBlocks: 4
; NumSGPRsForWavesPerEU: 45
; NumVGPRsForWavesPerEU: 38
; AccumOffset: 40
; Occupancy: 8
; WaveLimiterHint : 0
; COMPUTE_PGM_RSRC2:SCRATCH_EN: 0
; COMPUTE_PGM_RSRC2:USER_SGPR: 2
; COMPUTE_PGM_RSRC2:TRAP_HANDLER: 0
; COMPUTE_PGM_RSRC2:TGID_X_EN: 1
; COMPUTE_PGM_RSRC2:TGID_Y_EN: 0
; COMPUTE_PGM_RSRC2:TGID_Z_EN: 0
; COMPUTE_PGM_RSRC2:TIDIG_COMP_CNT: 0
; COMPUTE_PGM_RSRC3_GFX90A:ACCUM_OFFSET: 9
; COMPUTE_PGM_RSRC3_GFX90A:TG_SPLIT: 0
	.text
	.protected	math_ops_f16            ; -- Begin function math_ops_f16
	.globl	math_ops_f16
	.p2align	8
	.type	math_ops_f16,@function
math_ops_f16:                           ; @math_ops_f16
; %bb.0:
	s_load_dword s3, s[0:1], 0x1c
	s_waitcnt lgkmcnt(0)
	s_and_b32 s3, s3, 0xffff
	s_mul_i32 s2, s2, s3
	v_add_u32_e32 v0, s2, v0
	s_mov_b32 s2, 0x10000
	v_cmp_gt_u32_e32 vcc, s2, v0
	s_and_saveexec_b64 s[2:3], vcc
	s_cbranch_execz .LBB1_3
; %bb.1:
	s_load_dwordx4 s[0:3], s[0:1], 0x0
	v_mov_b32_e32 v1, 0
	v_lshlrev_b64 v[2:3], 1, v[0:1]
	v_add_u32_e32 v4, 0xffffc000, v0
	s_mov_b32 s4, 0xbfff
	s_waitcnt lgkmcnt(0)
	v_lshl_add_u64 v[0:1], s[0:1], 0, v[2:3]
	v_lshl_add_u64 v[2:3], s[2:3], 0, v[2:3]
	s_mov_b64 s[0:1], 0
	s_mov_b64 s[2:3], 0x8000
.LBB1_2:                                ; =>This Inner Loop Header: Depth=1
	global_load_ushort v5, v[0:1], off
	v_add_u32_e32 v4, 0x4000, v4
	v_cmp_lt_u32_e32 vcc, s4, v4
	v_lshl_add_u64 v[0:1], v[0:1], 0, s[2:3]
	s_or_b64 s[0:1], vcc, s[0:1]
	s_waitcnt vmcnt(0)
	v_cvt_f32_f16_e32 v6, v5
	v_add_f16_e64 v5, |v5|, 1.0
	v_rsq_f16_e32 v5, v5
	v_mul_f32_e32 v6, 0x3fb8aa3b, v6
	v_exp_f32_e32 v6, v6
	s_nop 0
	v_cvt_f16_f32_e32 v6, v6
	v_add_f16_e32 v5, v5, v6
	global_store_short v[2:3], v5, off
	v_lshl_add_u64 v[2:3], v[2:3], 0, s[2:3]
	s_andn2_b64 exec, exec, s[0:1]
	s_cbranch_execnz .LBB1_2
.LBB1_3:
	s_endpgm
	.section	.rodata,"a",@progbits
	.p2align	6, 0x0
	.amdhsa_kernel math_ops_f16
		.amdhsa_group_segment_fixed_size 0
		.amdhsa_private_segment_fixed_size 0
		.amdhsa_kernarg_size 272
		.amdhsa_user_sgpr_count 2
		.amdhsa_user_sgpr_dispatch_ptr 0
		.amdhsa_user_sgpr_queue_ptr 0
		.amdhsa_user_sgpr_kernarg_segment_ptr 1
		.amdhsa_user_sgpr_dispatch_id 0
		.amdhsa_user_sgpr_kernarg_preload_length 0
		.amdhsa_user_sgpr_kernarg_preload_offset 0
		.amdhsa_user_sgpr_private_segment_size 0
		.amdhsa_uses_dynamic_stack 0
		.amdhsa_enable_private_segment 0
		.amdhsa_system_sgpr_workgroup_id_x 1
		.amdhsa_system_sgpr_workgroup_id_y 0
		.amdhsa_system_sgpr_workgroup_id_z 0
		.amdhsa_system_sgpr_workgroup_info 0
		.amdhsa_system_vgpr_workitem_id 0
		.amdhsa_next_free_vgpr 7
		.amdhsa_next_free_sgpr 5
		.amdhsa_accum_offset 8
		.amdhsa_reserve_vcc 1
		.amdhsa_float_round_mode_32 0
		.amdhsa_float_round_mode_16_64 0
		.amdhsa_float_denorm_mode_32 3
		.amdhsa_float_denorm_mode_16_64 3
		.amdhsa_dx10_clamp 1
		.amdhsa_ieee_mode 1
		.amdhsa_fp16_overflow 0
		.amdhsa_tg_split 0
		.amdhsa_exception_fp_ieee_invalid_op 0
		.amdhsa_exception_fp_denorm_src 0
		.amdhsa_exception_fp_ieee_div_zero 0
		.amdhsa_exception_fp_ieee_overflow 0
		.amdhsa_exception_fp_ieee_underflow 0
		.amdhsa_exception_fp_ieee_inexact 0
		.amdhsa_exception_int_div_zero 0
	.end_amdhsa_kernel
	.text
.Lfunc_end1:
	.size	math_ops_f16, .Lfunc_end1-math_ops_f16
                                        ; -- End function
	.section	.AMDGPU.csdata,"",@progbits
; Kernel info:
; codeLenInByte = 220
; NumSgprs: 11
; NumVgprs: 7
; NumAgprs: 0
; TotalNumVgprs: 7
; ScratchSize: 0
; MemoryBound: 0
; FloatMode: 240
; IeeeMode: 1
; LDSByteSize: 0 bytes/workgroup (compile time only)
; SGPRBlocks: 1
; VGPRBlocks: 0
; NumSGPRsForWavesPerEU: 11
; NumVGPRsForWavesPerEU: 7
; AccumOffset: 8
; Occupancy: 8
; WaveLimiterHint : 0
; COMPUTE_PGM_RSRC2:SCRATCH_EN: 0
; COMPUTE_PGM_RSRC2:USER_SGPR: 2
; COMPUTE_PGM_RSRC2:TRAP_HANDLER: 0
; COMPUTE_PGM_RSRC2:TGID_X_EN: 1
; COMPUTE_PGM_RSRC2:TGID_Y_EN: 0
; COMPUTE_PGM_RSRC2:TGID_Z_EN: 0
; COMPUTE_PGM_RSRC2:TIDIG_COMP_CNT: 0
; COMPUTE_PGM_RSRC3_GFX90A:ACCUM_OFFSET: 1
; COMPUTE_PGM_RSRC3_GFX90A:TG_SPLIT: 0
	.text
	.p2alignl 6, 3212836864
	.fill 256, 4, 3212836864
	.type	__hip_cuid_409b7007f9a1f60,@object ; @__hip_cuid_409b7007f9a1f60
	.section	.bss,"aw",@nobits
	.globl	__hip_cuid_409b7007f9a1f60
__hip_cuid_409b7007f9a1f60:
	.byte	0                               ; 0x0
	.size	__hip_cuid_409b7007f9a1f60, 1

	.ident	"AMD clang version 19.0.0git (https://github.com/RadeonOpenCompute/llvm-project roc-6.4.0 25133 c7fe45cf4b819c5991fe208aaa96edf142730f1d)"
	.section	".note.GNU-stack","",@progbits
	.addrsig
	.addrsig_sym __hip_cuid_409b7007f9a1f60
	.amdgpu_metadata
---
amdhsa.kernels:
  - .agpr_count:     0
    .args:
      - .address_space:  global
        .offset:         0
        .size:           8
        .value_kind:     global_buffer
      - .address_space:  global
        .offset:         8
        .size:           8
        .value_kind:     global_buffer
      - .offset:         16
        .size:           4
        .value_kind:     hidden_block_count_x
      - .offset:         20
        .size:           4
        .value_kind:     hidden_block_count_y
      - .offset:         24
        .size:           4
        .value_kind:     hidden_block_count_z
      - .offset:         28
        .size:           2
        .value_kind:     hidden_group_size_x
      - .offset:         30
        .size:           2
        .value_kind:     hidden_group_size_y
      - .offset:         32
        .size:           2
        .value_kind:     hidden_group_size_z
      - .offset:         34
        .size:           2
        .value_kind:     hidden_remainder_x
      - .offset:         36
        .size:           2
        .value_kind:     hidden_remainder_y
      - .offset:         38
        .size:           2
        .value_kind:     hidden_remainder_z
      - .offset:         56
        .size:           8
        .value_kind:     hidden_global_offset_x
      - .offset:         64
        .size:           8
        .value_kind:     hidden_global_offset_y
      - .offset:         72
        .size:           8
        .value_kind:     hidden_global_offset_z
      - .offset:         80
        .size:           2
        .value_kind:     hidden_grid_dims
    .group_segment_fixed_size: 0
    .kernarg_segment_align: 8
    .kernarg_segment_size: 272
    .language:       OpenCL C
    .language_version:
      - 2
      - 0
    .max_flat_workgroup_size: 1024
    .name:           math_ops_f32
    .private_segment_fixed_size: 0
    .sgpr_count:     45
    .sgpr_spill_count: 0
    .symbol:         math_ops_f32.kd
    .uniform_work_group_size: 1
    .uses_dynamic_stack: false
    .vgpr_count:     38
    .vgpr_spill_count: 0
    .wavefront_size: 64
  - .agpr_count:     0
    .args:
      - .address_space:  global
        .offset:         0
        .size:           8
        .value_kind:     global_buffer
      - .address_space:  global
        .offset:         8
        .size:           8
        .value_kind:     global_buffer
      - .offset:         16
        .size:           4
        .value_kind:     hidden_block_count_x
      - .offset:         20
        .size:           4
        .value_kind:     hidden_block_count_y
      - .offset:         24
        .size:           4
        .value_kind:     hidden_block_count_z
      - .offset:         28
        .size:           2
        .value_kind:     hidden_group_size_x
      - .offset:         30
        .size:           2
        .value_kind:     hidden_group_size_y
      - .offset:         32
        .size:           2
        .value_kind:     hidden_group_size_z
      - .offset:         34
        .size:           2
        .value_kind:     hidden_remainder_x
      - .offset:         36
        .size:           2
        .value_kind:     hidden_remainder_y
      - .offset:         38
        .size:           2
        .value_kind:     hidden_remainder_z
      - .offset:         56
        .size:           8
        .value_kind:     hidden_global_offset_x
      - .offset:         64
        .size:           8
        .value_kind:     hidden_global_offset_y
      - .offset:         72
        .size:           8
        .value_kind:     hidden_global_offset_z
      - .offset:         80
        .size:           2
        .value_kind:     hidden_grid_dims
    .group_segment_fixed_size: 0
    .kernarg_segment_align: 8
    .kernarg_segment_size: 272
    .language:       OpenCL C
    .language_version:
      - 2
      - 0
    .max_flat_workgroup_size: 1024
    .name:           math_ops_f16
    .private_segment_fixed_size: 0
    .sgpr_count:     11
    .sgpr_spill_count: 0
    .symbol:         math_ops_f16.kd
    .uniform_work_group_size: 1
    .uses_dynamic_stack: false
    .vgpr_count:     7
    .vgpr_spill_count: 0
    .wavefront_size: 64
amdhsa.target:   amdgcn-amd-amdhsa--gfx950
amdhsa.version:
  - 1
  - 2
...

	.end_amdgpu_metadata
